;; amdgpu-corpus repo=llvm/llvm-project kind=harvested arch=n/a opt=n/a
// NOTE: Assertions have been autogenerated by utils/update_mc_test_checks.py UTC_ARGS: --unique --sort --version 6
// RUN: not llvm-mc -triple=amdgcn -mcpu=gfx900 %s -filetype=null 2>&1 | FileCheck -check-prefix=PREGFX11 --implicit-check-not=error: %s
// RUN: not llvm-mc -triple=amdgcn -mcpu=gfx1010 %s -filetype=null 2>&1 | FileCheck -check-prefix=PREGFX11 --implicit-check-not=error: %s
// RUN: llvm-mc -triple=amdgcn -mcpu=gfx1100 -show-encoding %s | FileCheck -check-prefix=GFX11 --implicit-check-not=error: %s

exp dual_src_blend0 v4, v3, v2, v1
// GFX11: exp dual_src_blend0, v4, v3, v2, v1     ; encoding: [0x5f,0x01,0x00,0xf8,0x04,0x03,0x02,0x01]
// PREGFX11: :[[@LINE-2]]:5: error: exp target is not supported on this GPU

exp dual_src_blend1 v2, v3, off, off
// GFX11: exp dual_src_blend1, v2, v3, off, off   ; encoding: [0x63,0x01,0x00,0xf8,0x02,0x03,0x00,0x00]
// PREGFX11: :[[@LINE-2]]:5: error: exp target is not supported on this GPU

exp mrtz v4, v3, off, off done row_en
// GFX11: exp mrtz, v4, v3, off, off done row_en  ; encoding: [0x83,0x28,0x00,0xf8,0x04,0x03,0x00,0x00]
// PREGFX11: :[[@LINE-2]]:32: error: invalid operand for instruction

exp mrtz v4, v3, v2, v1 row_en
// GFX11: exp mrtz, v4, v3, v2, v1 row_en         ; encoding: [0x8f,0x20,0x00,0xf8,0x04,0x03,0x02,0x01]
// PREGFX11: :[[@LINE-2]]:25: error: invalid operand for instruction
